;; amdgpu-corpus repo=zjin-lcf/HeCBench kind=compiled arch=gfx906 opt=O3
	.amdgcn_target "amdgcn-amd-amdhsa--gfx906"
	.amdhsa_code_object_version 6
	.text
	.protected	_Z6kernelPdS_PKdS1_ii   ; -- Begin function _Z6kernelPdS_PKdS1_ii
	.globl	_Z6kernelPdS_PKdS1_ii
	.p2align	8
	.type	_Z6kernelPdS_PKdS1_ii,@function
_Z6kernelPdS_PKdS1_ii:                  ; @_Z6kernelPdS_PKdS1_ii
; %bb.0:
	s_load_dword s0, s[4:5], 0x34
	s_load_dwordx2 s[8:9], s[4:5], 0x20
	s_waitcnt lgkmcnt(0)
	s_and_b32 s0, s0, 0xffff
	s_mul_i32 s6, s6, s0
	v_add_u32_e32 v2, s6, v0
	v_cmp_gt_i32_e32 vcc, s9, v2
	s_and_saveexec_b64 s[0:1], vcc
	s_cbranch_execz .LBB0_14
; %bb.1:
	s_load_dwordx2 s[6:7], s[4:5], 0x0
	s_cmp_lt_i32 s8, 1
	s_cbranch_scc1 .LBB0_8
; %bb.2:
	s_load_dwordx4 s[0:3], s[4:5], 0x8
	s_load_dwordx2 s[10:11], s[4:5], 0x18
	v_ashrrev_i32_e32 v3, 31, v2
	v_lshlrev_b64 v[0:1], 3, v[2:3]
	v_mov_b32_e32 v6, 0x3ff00000
	s_waitcnt lgkmcnt(0)
	v_mov_b32_e32 v4, s3
	v_add_co_u32_e32 v3, vcc, s2, v0
	v_addc_co_u32_e32 v4, vcc, v4, v1, vcc
	v_mov_b32_e32 v0, 0
	s_mov_b32 s3, 0
	v_mov_b32_e32 v1, 0
	v_mov_b32_e32 v11, s1
	v_mov_b32_e32 v5, 0
	s_mov_b32 s2, s3
	s_branch .LBB0_4
.LBB0_3:                                ;   in Loop: Header=BB0_4 Depth=1
	v_add_f64 v[0:1], v[0:1], |v[9:10]|
	s_add_i32 s2, s2, 1
	s_cmp_eq_u32 s2, s8
	s_cbranch_scc1 .LBB0_9
.LBB0_4:                                ; =>This Loop Header: Depth=1
                                        ;     Child Loop BB0_6 Depth 2
	s_mul_i32 s1, s2, s9
	v_add_u32_e32 v7, s1, v2
	v_ashrrev_i32_e32 v8, 31, v7
	v_lshlrev_b64 v[7:8], 3, v[7:8]
	s_lshl_b64 s[4:5], s[2:3], 3
	v_add_co_u32_e32 v7, vcc, s0, v7
	s_add_u32 s4, s10, s4
	v_mov_b32_e32 v9, 0
	v_addc_co_u32_e32 v8, vcc, v11, v8, vcc
	s_addc_u32 s5, s11, s5
	v_mov_b32_e32 v10, 0x3ff00000
	s_mov_b64 s[12:13], s[10:11]
	s_mov_b32 s1, 0
	global_store_dwordx2 v[7:8], v[5:6], off
	s_branch .LBB0_6
.LBB0_5:                                ;   in Loop: Header=BB0_6 Depth=2
	s_add_i32 s1, s1, 1
	s_add_u32 s12, s12, 8
	s_addc_u32 s13, s13, 0
	s_cmp_eq_u32 s8, s1
	s_cbranch_scc1 .LBB0_3
.LBB0_6:                                ;   Parent Loop BB0_4 Depth=1
                                        ; =>  This Inner Loop Header: Depth=2
	s_cmp_eq_u32 s2, s1
	s_cbranch_scc1 .LBB0_5
; %bb.7:                                ;   in Loop: Header=BB0_6 Depth=2
	global_load_dwordx2 v[12:13], v[3:4], off
	s_load_dwordx2 s[14:15], s[12:13], 0x0
	s_load_dwordx2 s[16:17], s[4:5], 0x0
	s_waitcnt lgkmcnt(0)
	v_mov_b32_e32 v14, s14
	v_mov_b32_e32 v15, s15
	v_add_f64 v[14:15], s[16:17], -v[14:15]
	s_waitcnt vmcnt(0)
	v_add_f64 v[12:13], v[12:13], -s[14:15]
	v_mul_f64 v[9:10], v[9:10], v[12:13]
	v_div_scale_f64 v[12:13], s[14:15], v[14:15], v[14:15], v[9:10]
	v_div_scale_f64 v[20:21], vcc, v[9:10], v[14:15], v[9:10]
	v_rcp_f64_e32 v[16:17], v[12:13]
	v_fma_f64 v[18:19], -v[12:13], v[16:17], 1.0
	v_fma_f64 v[16:17], v[16:17], v[18:19], v[16:17]
	v_fma_f64 v[18:19], -v[12:13], v[16:17], 1.0
	v_fma_f64 v[16:17], v[16:17], v[18:19], v[16:17]
	v_mul_f64 v[18:19], v[20:21], v[16:17]
	v_fma_f64 v[12:13], -v[12:13], v[18:19], v[20:21]
	v_div_fmas_f64 v[12:13], v[12:13], v[16:17], v[18:19]
	v_div_fixup_f64 v[9:10], v[12:13], v[14:15], v[9:10]
	global_store_dwordx2 v[7:8], v[9:10], off
	s_branch .LBB0_5
.LBB0_8:
	v_mov_b32_e32 v0, 0
	v_mov_b32_e32 v1, 0
.LBB0_9:
	v_mov_b32_e32 v2, 0
	s_mov_b64 s[0:1], exec
	v_mov_b32_e32 v3, 0x7ff80000
.LBB0_10:                               ; =>This Inner Loop Header: Depth=1
	s_ff1_i32_b64 s4, s[0:1]
	v_readlane_b32 s3, v1, s4
	v_readlane_b32 s2, v0, s4
	v_max_f64 v[2:3], v[2:3], v[2:3]
	v_max_f64 v[4:5], s[2:3], s[2:3]
	s_lshl_b64 s[2:3], 1, s4
	s_andn2_b64 s[0:1], s[0:1], s[2:3]
	s_cmp_lg_u64 s[0:1], 0
	v_max_f64 v[2:3], v[2:3], v[4:5]
	s_cbranch_scc1 .LBB0_10
; %bb.11:
	v_mbcnt_lo_u32_b32 v0, exec_lo, 0
	v_mbcnt_hi_u32_b32 v0, exec_hi, v0
	v_cmp_eq_u32_e32 vcc, 0, v0
	s_and_saveexec_b64 s[0:1], vcc
	s_xor_b64 s[0:1], exec, s[0:1]
	s_cbranch_execz .LBB0_14
; %bb.12:
	v_max_f64 v[4:5], v[2:3], v[2:3]
	s_waitcnt lgkmcnt(0)
	s_load_dwordx2 s[2:3], s[6:7], 0x0
	s_mov_b64 s[0:1], 0
	v_mov_b32_e32 v6, 0
	s_waitcnt lgkmcnt(0)
	v_mov_b32_e32 v2, s2
	v_mov_b32_e32 v3, s3
.LBB0_13:                               ; =>This Inner Loop Header: Depth=1
	v_max_f64 v[0:1], v[2:3], v[2:3]
	v_max_f64 v[0:1], v[0:1], v[4:5]
	global_atomic_cmpswap_x2 v[0:1], v6, v[0:3], s[6:7] glc
	s_waitcnt vmcnt(0)
	v_cmp_eq_u64_e32 vcc, v[0:1], v[2:3]
	v_mov_b32_e32 v3, v1
	s_or_b64 s[0:1], vcc, s[0:1]
	v_mov_b32_e32 v2, v0
	s_andn2_b64 exec, exec, s[0:1]
	s_cbranch_execnz .LBB0_13
.LBB0_14:
	s_endpgm
	.section	.rodata,"a",@progbits
	.p2align	6, 0x0
	.amdhsa_kernel _Z6kernelPdS_PKdS1_ii
		.amdhsa_group_segment_fixed_size 0
		.amdhsa_private_segment_fixed_size 0
		.amdhsa_kernarg_size 296
		.amdhsa_user_sgpr_count 6
		.amdhsa_user_sgpr_private_segment_buffer 1
		.amdhsa_user_sgpr_dispatch_ptr 0
		.amdhsa_user_sgpr_queue_ptr 0
		.amdhsa_user_sgpr_kernarg_segment_ptr 1
		.amdhsa_user_sgpr_dispatch_id 0
		.amdhsa_user_sgpr_flat_scratch_init 0
		.amdhsa_user_sgpr_private_segment_size 0
		.amdhsa_uses_dynamic_stack 0
		.amdhsa_system_sgpr_private_segment_wavefront_offset 0
		.amdhsa_system_sgpr_workgroup_id_x 1
		.amdhsa_system_sgpr_workgroup_id_y 0
		.amdhsa_system_sgpr_workgroup_id_z 0
		.amdhsa_system_sgpr_workgroup_info 0
		.amdhsa_system_vgpr_workitem_id 0
		.amdhsa_next_free_vgpr 22
		.amdhsa_next_free_sgpr 18
		.amdhsa_reserve_vcc 1
		.amdhsa_reserve_flat_scratch 0
		.amdhsa_float_round_mode_32 0
		.amdhsa_float_round_mode_16_64 0
		.amdhsa_float_denorm_mode_32 3
		.amdhsa_float_denorm_mode_16_64 3
		.amdhsa_dx10_clamp 1
		.amdhsa_ieee_mode 1
		.amdhsa_fp16_overflow 0
		.amdhsa_exception_fp_ieee_invalid_op 0
		.amdhsa_exception_fp_denorm_src 0
		.amdhsa_exception_fp_ieee_div_zero 0
		.amdhsa_exception_fp_ieee_overflow 0
		.amdhsa_exception_fp_ieee_underflow 0
		.amdhsa_exception_fp_ieee_inexact 0
		.amdhsa_exception_int_div_zero 0
	.end_amdhsa_kernel
	.text
.Lfunc_end0:
	.size	_Z6kernelPdS_PKdS1_ii, .Lfunc_end0-_Z6kernelPdS_PKdS1_ii
                                        ; -- End function
	.set _Z6kernelPdS_PKdS1_ii.num_vgpr, 22
	.set _Z6kernelPdS_PKdS1_ii.num_agpr, 0
	.set _Z6kernelPdS_PKdS1_ii.numbered_sgpr, 18
	.set _Z6kernelPdS_PKdS1_ii.num_named_barrier, 0
	.set _Z6kernelPdS_PKdS1_ii.private_seg_size, 0
	.set _Z6kernelPdS_PKdS1_ii.uses_vcc, 1
	.set _Z6kernelPdS_PKdS1_ii.uses_flat_scratch, 0
	.set _Z6kernelPdS_PKdS1_ii.has_dyn_sized_stack, 0
	.set _Z6kernelPdS_PKdS1_ii.has_recursion, 0
	.set _Z6kernelPdS_PKdS1_ii.has_indirect_call, 0
	.section	.AMDGPU.csdata,"",@progbits
; Kernel info:
; codeLenInByte = 636
; TotalNumSgprs: 22
; NumVgprs: 22
; ScratchSize: 0
; MemoryBound: 1
; FloatMode: 240
; IeeeMode: 1
; LDSByteSize: 0 bytes/workgroup (compile time only)
; SGPRBlocks: 2
; VGPRBlocks: 5
; NumSGPRsForWavesPerEU: 22
; NumVGPRsForWavesPerEU: 22
; Occupancy: 10
; WaveLimiterHint : 0
; COMPUTE_PGM_RSRC2:SCRATCH_EN: 0
; COMPUTE_PGM_RSRC2:USER_SGPR: 6
; COMPUTE_PGM_RSRC2:TRAP_HANDLER: 0
; COMPUTE_PGM_RSRC2:TGID_X_EN: 1
; COMPUTE_PGM_RSRC2:TGID_Y_EN: 0
; COMPUTE_PGM_RSRC2:TGID_Z_EN: 0
; COMPUTE_PGM_RSRC2:TIDIG_COMP_CNT: 0
	.section	.AMDGPU.gpr_maximums,"",@progbits
	.set amdgpu.max_num_vgpr, 0
	.set amdgpu.max_num_agpr, 0
	.set amdgpu.max_num_sgpr, 0
	.section	.AMDGPU.csdata,"",@progbits
	.type	__hip_cuid_6d2d9274ce01e223,@object ; @__hip_cuid_6d2d9274ce01e223
	.section	.bss,"aw",@nobits
	.globl	__hip_cuid_6d2d9274ce01e223
__hip_cuid_6d2d9274ce01e223:
	.byte	0                               ; 0x0
	.size	__hip_cuid_6d2d9274ce01e223, 1

	.ident	"AMD clang version 22.0.0git (https://github.com/RadeonOpenCompute/llvm-project roc-7.2.4 26084 f58b06dce1f9c15707c5f808fd002e18c2accf7e)"
	.section	".note.GNU-stack","",@progbits
	.addrsig
	.addrsig_sym __hip_cuid_6d2d9274ce01e223
	.amdgpu_metadata
---
amdhsa.kernels:
  - .args:
      - .address_space:  global
        .offset:         0
        .size:           8
        .value_kind:     global_buffer
      - .actual_access:  write_only
        .address_space:  global
        .offset:         8
        .size:           8
        .value_kind:     global_buffer
      - .actual_access:  read_only
        .address_space:  global
        .offset:         16
        .size:           8
        .value_kind:     global_buffer
      - .actual_access:  read_only
        .address_space:  global
        .offset:         24
        .size:           8
        .value_kind:     global_buffer
      - .offset:         32
        .size:           4
        .value_kind:     by_value
      - .offset:         36
        .size:           4
        .value_kind:     by_value
      - .offset:         40
        .size:           4
        .value_kind:     hidden_block_count_x
      - .offset:         44
        .size:           4
        .value_kind:     hidden_block_count_y
      - .offset:         48
        .size:           4
        .value_kind:     hidden_block_count_z
      - .offset:         52
        .size:           2
        .value_kind:     hidden_group_size_x
      - .offset:         54
        .size:           2
        .value_kind:     hidden_group_size_y
      - .offset:         56
        .size:           2
        .value_kind:     hidden_group_size_z
      - .offset:         58
        .size:           2
        .value_kind:     hidden_remainder_x
      - .offset:         60
        .size:           2
        .value_kind:     hidden_remainder_y
      - .offset:         62
        .size:           2
        .value_kind:     hidden_remainder_z
      - .offset:         80
        .size:           8
        .value_kind:     hidden_global_offset_x
      - .offset:         88
        .size:           8
        .value_kind:     hidden_global_offset_y
      - .offset:         96
        .size:           8
        .value_kind:     hidden_global_offset_z
      - .offset:         104
        .size:           2
        .value_kind:     hidden_grid_dims
    .group_segment_fixed_size: 0
    .kernarg_segment_align: 8
    .kernarg_segment_size: 296
    .language:       OpenCL C
    .language_version:
      - 2
      - 0
    .max_flat_workgroup_size: 1024
    .name:           _Z6kernelPdS_PKdS1_ii
    .private_segment_fixed_size: 0
    .sgpr_count:     22
    .sgpr_spill_count: 0
    .symbol:         _Z6kernelPdS_PKdS1_ii.kd
    .uniform_work_group_size: 1
    .uses_dynamic_stack: false
    .vgpr_count:     22
    .vgpr_spill_count: 0
    .wavefront_size: 64
amdhsa.target:   amdgcn-amd-amdhsa--gfx906
amdhsa.version:
  - 1
  - 2
...

	.end_amdgpu_metadata
